;; amdgpu-corpus repo=zjin-lcf/HeCBench kind=compiled arch=gfx906 opt=O3
	.amdgcn_target "amdgcn-amd-amdhsa--gfx906"
	.amdhsa_code_object_version 6
	.text
	.protected	_Z16cast1_intrinsicsiPKdPx ; -- Begin function _Z16cast1_intrinsicsiPKdPx
	.globl	_Z16cast1_intrinsicsiPKdPx
	.p2align	8
	.type	_Z16cast1_intrinsicsiPKdPx,@function
_Z16cast1_intrinsicsiPKdPx:             ; @_Z16cast1_intrinsicsiPKdPx
; %bb.0:
	s_load_dword s0, s[4:5], 0x24
	s_load_dword s1, s[4:5], 0x0
	s_waitcnt lgkmcnt(0)
	s_and_b32 s0, s0, 0xffff
	s_mul_i32 s6, s6, s0
	v_add_u32_e32 v0, s6, v0
	v_cmp_gt_i32_e32 vcc, s1, v0
	s_and_saveexec_b64 s[0:1], vcc
	s_cbranch_execz .LBB0_2
; %bb.1:
	s_load_dwordx4 s[0:3], s[4:5], 0x8
	v_ashrrev_i32_e32 v1, 31, v0
	v_lshlrev_b64 v[0:1], 3, v[0:1]
	s_movk_i32 s4, 0xffe0
	s_waitcnt lgkmcnt(0)
	v_mov_b32_e32 v3, s1
	v_add_co_u32_e32 v2, vcc, s0, v0
	v_addc_co_u32_e32 v3, vcc, v3, v1, vcc
	global_load_dwordx2 v[2:3], v[2:3], off
	s_mov_b32 s1, 0x2f800000
	s_mov_b32 s0, 0xcf800000
	s_waitcnt vmcnt(0)
	v_cvt_f32_f64_e32 v4, v[2:3]
	v_rndne_f64_e32 v[9:10], v[2:3]
	v_floor_f64_e32 v[11:12], v[2:3]
	v_trunc_f64_e32 v[15:16], v[2:3]
	v_floor_f32_e32 v8, v4
	v_mul_f32_e64 v19, |v8|, s1
	v_rndne_f32_e32 v7, v4
	v_floor_f32_e32 v19, v19
	v_mul_f32_e64 v21, |v7|, s1
	v_fma_f32 v28, v19, s0, |v8|
	v_ceil_f32_e32 v6, v4
	v_floor_f32_e32 v21, v21
	v_cvt_u32_f32_e32 v28, v28
	v_mul_f32_e64 v23, |v6|, s1
	v_cvt_u32_f32_e32 v19, v19
	v_fma_f32 v29, v21, s0, |v7|
	v_trunc_f32_e32 v5, v4
	v_floor_f32_e32 v23, v23
	v_cvt_u32_f32_e32 v29, v29
	v_ashrrev_i32_e32 v20, 31, v8
	v_mul_f32_e64 v25, |v5|, s1
	v_cvt_u32_f32_e32 v21, v21
	v_fma_f32 v30, v23, s0, |v6|
	v_floor_f32_e32 v25, v25
	v_cvt_u32_f32_e32 v23, v23
	v_cvt_u32_f32_e32 v30, v30
	v_xor_b32_e32 v28, v28, v20
	v_ashrrev_i32_e32 v22, 31, v7
	v_fma_f32 v31, v25, s0, |v5|
	v_xor_b32_e32 v19, v19, v20
	v_sub_co_u32_e32 v28, vcc, v28, v20
	v_cvt_i32_f64_e32 v17, v[2:3]
	v_cvt_u32_f64_e32 v18, v[2:3]
	v_cvt_u32_f32_e32 v25, v25
	v_cvt_i32_f64_e32 v32, v[11:12]
	v_cvt_u32_f64_e32 v33, v[9:10]
	v_cvt_u32_f32_e32 v31, v31
	v_xor_b32_e32 v29, v29, v22
	v_subb_co_u32_e32 v36, vcc, v19, v20, vcc
	v_ashrrev_i32_e32 v24, 31, v6
	v_cvt_i32_f64_e32 v34, v[9:10]
	v_cvt_u32_f64_e32 v35, v[11:12]
	v_xor_b32_e32 v21, v21, v22
	v_sub_co_u32_e32 v29, vcc, v29, v22
	v_subb_co_u32_e32 v37, vcc, v21, v22, vcc
	v_xor_b32_e32 v21, v23, v24
	v_xor_b32_e32 v23, v30, v24
	v_ceil_f64_e32 v[13:14], v[2:3]
	v_ashrrev_i32_e32 v26, 31, v5
	v_sub_co_u32_e32 v30, vcc, v23, v24
	v_xor_b32_e32 v17, v32, v17
	v_xor_b32_e32 v18, v33, v18
	;; [unrolled: 1-line block ×4, first 2 shown]
	v_subb_co_u32_e32 v31, vcc, v21, v24, vcc
	v_xor_b32_e32 v34, v17, v34
	v_xor_b32_e32 v35, v18, v35
	v_ldexp_f64 v[17:18], v[9:10], s4
	v_ldexp_f64 v[19:20], v[15:16], s4
	v_sub_co_u32_e32 v25, vcc, v25, v26
	v_subb_co_u32_e32 v26, vcc, v22, v26, vcc
	v_ldexp_f64 v[21:22], v[11:12], s4
	v_cvt_i32_f64_e32 v32, v[13:14]
	v_cvt_u32_f64_e32 v33, v[13:14]
	v_cvt_i32_f32_e32 v27, v8
	v_floor_f64_e32 v[17:18], v[17:18]
	v_floor_f64_e32 v[19:20], v[19:20]
	v_cvt_i32_f32_e32 v24, v7
	v_xor_b32_e32 v23, v34, v32
	v_floor_f64_e32 v[21:22], v[21:22]
	v_xor_b32_e32 v32, v35, v33
	v_cvt_i32_f32_e32 v33, v6
	v_xor_b32_e32 v23, v23, v27
	v_cvt_i32_f32_e32 v27, v5
	v_xor_b32_e32 v23, v23, v24
	v_xor_b32_e32 v23, v23, v33
	;; [unrolled: 1-line block ×5, first 2 shown]
	v_cvt_i32_f64_e32 v23, v[17:18]
	v_cvt_i32_f64_e32 v24, v[19:20]
	v_cvt_i32_f64_e32 v33, v[21:22]
	s_mov_b32 s0, 0
	s_mov_b32 s1, 0xc1f00000
	v_xor_b32_e32 v23, v24, v23
	v_xor_b32_e32 v33, v23, v33
	v_ldexp_f64 v[23:24], v[13:14], s4
	v_fma_f64 v[11:12], v[21:22], s[0:1], v[11:12]
	v_fma_f64 v[9:10], v[17:18], s[0:1], v[9:10]
	;; [unrolled: 1-line block ×3, first 2 shown]
	v_floor_f64_e32 v[23:24], v[23:24]
	v_cvt_u32_f64_e32 v11, v[11:12]
	v_cvt_u32_f64_e32 v9, v[9:10]
	;; [unrolled: 1-line block ×3, first 2 shown]
	v_mul_f32_e32 v15, 0x2f800000, v8
	v_floor_f32_e32 v15, v15
	v_mul_f32_e32 v16, 0x2f800000, v7
	v_xor_b32_e32 v9, v12, v9
	v_fma_f64 v[13:14], v[23:24], s[0:1], v[13:14]
	v_xor_b32_e32 v9, v9, v11
	v_cvt_i32_f64_e32 v34, v[23:24]
	v_cvt_u32_f32_e32 v11, v8
	v_cvt_u32_f32_e32 v12, v7
	v_fmac_f32_e32 v8, 0xcf800000, v15
	v_xor_b32_e32 v33, v33, v34
	v_xor_b32_e32 v26, v33, v26
	v_cvt_u32_f64_e32 v10, v[13:14]
	v_xor_b32_e32 v13, v26, v36
	v_xor_b32_e32 v13, v13, v37
	;; [unrolled: 1-line block ×9, first 2 shown]
	v_cvt_u32_f32_e32 v10, v4
	v_xor_b32_e32 v3, v13, v3
	v_cvt_u32_f32_e32 v13, v6
	v_cvt_u32_f64_e32 v14, v[19:20]
	v_xor_b32_e32 v10, v32, v10
	v_xor_b32_e32 v10, v10, v11
	;; [unrolled: 1-line block ×3, first 2 shown]
	v_cvt_u32_f64_e32 v12, v[17:18]
	v_mul_f32_e32 v18, 0x2f800000, v5
	v_floor_f32_e32 v18, v18
	v_cvt_u32_f64_e32 v11, v[21:22]
	v_fmac_f32_e32 v5, 0xcf800000, v18
	v_xor_b32_e32 v10, v10, v13
	v_cvt_u32_f64_e32 v13, v[23:24]
	v_floor_f32_e32 v16, v16
	v_mul_f32_e32 v17, 0x2f800000, v6
	v_cvt_u32_f32_e32 v5, v5
	v_cvt_u32_f32_e32 v8, v8
	v_fmac_f32_e32 v7, 0xcf800000, v16
	v_floor_f32_e32 v17, v17
	v_cvt_u32_f32_e32 v18, v18
	v_cvt_u32_f32_e32 v15, v15
	;; [unrolled: 1-line block ×3, first 2 shown]
	v_fmac_f32_e32 v6, 0xcf800000, v17
	v_xor_b32_e32 v12, v12, v14
	v_cvt_u32_f32_e32 v16, v16
	v_cvt_u32_f32_e32 v6, v6
	v_xor_b32_e32 v11, v12, v11
	v_cvt_u32_f32_e32 v17, v17
	v_xor_b32_e32 v11, v11, v13
	v_xor_b32_e32 v5, v9, v5
	;; [unrolled: 1-line block ×10, first 2 shown]
	v_add_co_u32_e32 v2, vcc, v2, v5
	v_xad_u32 v4, v27, v4, v10
	v_addc_co_u32_e32 v3, vcc, v3, v7, vcc
	v_add_co_u32_e32 v2, vcc, v2, v4
	v_addc_co_u32_e32 v3, vcc, 0, v3, vcc
	v_mov_b32_e32 v4, s3
	v_add_co_u32_e32 v0, vcc, s2, v0
	v_addc_co_u32_e32 v1, vcc, v4, v1, vcc
	global_store_dwordx2 v[0:1], v[2:3], off
.LBB0_2:
	s_endpgm
	.section	.rodata,"a",@progbits
	.p2align	6, 0x0
	.amdhsa_kernel _Z16cast1_intrinsicsiPKdPx
		.amdhsa_group_segment_fixed_size 0
		.amdhsa_private_segment_fixed_size 0
		.amdhsa_kernarg_size 280
		.amdhsa_user_sgpr_count 6
		.amdhsa_user_sgpr_private_segment_buffer 1
		.amdhsa_user_sgpr_dispatch_ptr 0
		.amdhsa_user_sgpr_queue_ptr 0
		.amdhsa_user_sgpr_kernarg_segment_ptr 1
		.amdhsa_user_sgpr_dispatch_id 0
		.amdhsa_user_sgpr_flat_scratch_init 0
		.amdhsa_user_sgpr_private_segment_size 0
		.amdhsa_uses_dynamic_stack 0
		.amdhsa_system_sgpr_private_segment_wavefront_offset 0
		.amdhsa_system_sgpr_workgroup_id_x 1
		.amdhsa_system_sgpr_workgroup_id_y 0
		.amdhsa_system_sgpr_workgroup_id_z 0
		.amdhsa_system_sgpr_workgroup_info 0
		.amdhsa_system_vgpr_workitem_id 0
		.amdhsa_next_free_vgpr 38
		.amdhsa_next_free_sgpr 7
		.amdhsa_reserve_vcc 1
		.amdhsa_reserve_flat_scratch 0
		.amdhsa_float_round_mode_32 0
		.amdhsa_float_round_mode_16_64 0
		.amdhsa_float_denorm_mode_32 3
		.amdhsa_float_denorm_mode_16_64 3
		.amdhsa_dx10_clamp 1
		.amdhsa_ieee_mode 1
		.amdhsa_fp16_overflow 0
		.amdhsa_exception_fp_ieee_invalid_op 0
		.amdhsa_exception_fp_denorm_src 0
		.amdhsa_exception_fp_ieee_div_zero 0
		.amdhsa_exception_fp_ieee_overflow 0
		.amdhsa_exception_fp_ieee_underflow 0
		.amdhsa_exception_fp_ieee_inexact 0
		.amdhsa_exception_int_div_zero 0
	.end_amdhsa_kernel
	.text
.Lfunc_end0:
	.size	_Z16cast1_intrinsicsiPKdPx, .Lfunc_end0-_Z16cast1_intrinsicsiPKdPx
                                        ; -- End function
	.set _Z16cast1_intrinsicsiPKdPx.num_vgpr, 38
	.set _Z16cast1_intrinsicsiPKdPx.num_agpr, 0
	.set _Z16cast1_intrinsicsiPKdPx.numbered_sgpr, 7
	.set _Z16cast1_intrinsicsiPKdPx.num_named_barrier, 0
	.set _Z16cast1_intrinsicsiPKdPx.private_seg_size, 0
	.set _Z16cast1_intrinsicsiPKdPx.uses_vcc, 1
	.set _Z16cast1_intrinsicsiPKdPx.uses_flat_scratch, 0
	.set _Z16cast1_intrinsicsiPKdPx.has_dyn_sized_stack, 0
	.set _Z16cast1_intrinsicsiPKdPx.has_recursion, 0
	.set _Z16cast1_intrinsicsiPKdPx.has_indirect_call, 0
	.section	.AMDGPU.csdata,"",@progbits
; Kernel info:
; codeLenInByte = 884
; TotalNumSgprs: 11
; NumVgprs: 38
; ScratchSize: 0
; MemoryBound: 0
; FloatMode: 240
; IeeeMode: 1
; LDSByteSize: 0 bytes/workgroup (compile time only)
; SGPRBlocks: 1
; VGPRBlocks: 9
; NumSGPRsForWavesPerEU: 11
; NumVGPRsForWavesPerEU: 38
; Occupancy: 6
; WaveLimiterHint : 0
; COMPUTE_PGM_RSRC2:SCRATCH_EN: 0
; COMPUTE_PGM_RSRC2:USER_SGPR: 6
; COMPUTE_PGM_RSRC2:TRAP_HANDLER: 0
; COMPUTE_PGM_RSRC2:TGID_X_EN: 1
; COMPUTE_PGM_RSRC2:TGID_Y_EN: 0
; COMPUTE_PGM_RSRC2:TGID_Z_EN: 0
; COMPUTE_PGM_RSRC2:TIDIG_COMP_CNT: 0
	.text
	.protected	_Z16cast2_intrinsicsiPKxPx ; -- Begin function _Z16cast2_intrinsicsiPKxPx
	.globl	_Z16cast2_intrinsicsiPKxPx
	.p2align	8
	.type	_Z16cast2_intrinsicsiPKxPx,@function
_Z16cast2_intrinsicsiPKxPx:             ; @_Z16cast2_intrinsicsiPKxPx
; %bb.0:
	s_load_dword s0, s[4:5], 0x24
	s_load_dword s1, s[4:5], 0x0
	s_waitcnt lgkmcnt(0)
	s_and_b32 s0, s0, 0xffff
	s_mul_i32 s6, s6, s0
	v_add_u32_e32 v0, s6, v0
	v_cmp_gt_i32_e32 vcc, s1, v0
	s_and_saveexec_b64 s[0:1], vcc
	s_cbranch_execz .LBB1_2
; %bb.1:
	s_load_dwordx4 s[8:11], s[4:5], 0x8
	v_ashrrev_i32_e32 v1, 31, v0
	v_lshlrev_b64 v[0:1], 3, v[0:1]
	v_mov_b32_e32 v5, 0
	v_mov_b32_e32 v7, v5
	s_waitcnt lgkmcnt(0)
	v_mov_b32_e32 v3, s9
	v_add_co_u32_e32 v2, vcc, s8, v0
	v_addc_co_u32_e32 v3, vcc, v3, v1, vcc
	global_load_dwordx2 v[2:3], v[2:3], off
	s_waitcnt vmcnt(0)
	v_sub_u32_e32 v4, 0, v2
	v_ashrrev_i32_e32 v16, 31, v3
	v_xor_b32_e32 v10, v2, v3
	v_max_i32_e32 v4, v2, v4
	v_xor_b32_e32 v13, v2, v16
	v_ffbh_i32_e32 v11, v3
	v_xor_b32_e32 v12, v3, v16
	v_ashrrev_i32_e32 v15, 31, v10
	v_ffbh_u32_e32 v18, v4
	v_sub_co_u32_e32 v10, vcc, v13, v16
	v_cmp_eq_u32_e64 s[0:1], 0, v2
	v_add_u32_e32 v17, -1, v11
	v_subb_co_u32_e32 v11, vcc, v12, v16, vcc
	v_add_u32_e32 v12, 32, v15
	v_cndmask_b32_e64 v13, v18, 32, s[0:1]
	v_min_u32_e32 v17, v17, v12
	v_lshlrev_b32_e32 v12, 23, v13
	v_lshlrev_b32_e32 v4, v13, v4
	v_sub_u32_e32 v12, 0x4f000000, v12
	v_and_b32_e32 v6, 0x80000000, v2
	v_ffbh_u32_e32 v15, v10
	v_bfe_u32 v4, v4, 8, 23
	v_cndmask_b32_e64 v12, v12, 0, s[0:1]
	v_ffbh_u32_e32 v18, v11
	v_add_u32_e32 v15, 32, v15
	v_or3_b32 v19, v12, v6, v4
	v_lshlrev_b64 v[12:13], v17, v[2:3]
	v_cmp_eq_u64_e32 vcc, 0, v[2:3]
	v_min_u32_e32 v4, v15, v18
	v_cndmask_b32_e64 v4, v4, 64, vcc
	v_min_u32_e32 v6, 1, v12
	v_lshlrev_b64 v[10:11], v4, v[10:11]
	v_or_b32_e32 v18, v13, v6
	v_lshlrev_b32_e32 v6, 23, v4
	v_sub_u32_e32 v6, 0x5f000000, v6
	v_and_b32_e32 v14, 0x80000000, v16
	v_cndmask_b32_e64 v12, v6, 0, vcc
	v_bfe_u32 v13, v11, 8, 23
	v_cvt_f64_i32_e32 v[8:9], v2
	v_or3_b32 v20, v12, v14, v13
	v_cvt_f64_u32_e32 v[12:13], v2
	v_sub_u32_e32 v4, 0x43e, v4
	v_lshlrev_b32_e32 v4, 20, v4
	v_cndmask_b32_e64 v15, v4, 0, vcc
	v_and_b32_e32 v4, 0x7ff, v10
	v_add_f64 v[8:9], v[8:9], v[12:13]
	v_and_b32_e32 v6, v4, v16
	v_cmp_ne_u64_e64 s[2:3], 0, v[6:7]
	v_lshrrev_b64 v[6:7], 11, v[10:11]
	v_cmp_ne_u64_e64 s[4:5], 0, v[4:5]
	v_and_b32_e32 v7, 0xfffff, v7
	v_or3_b32 v6, 0, 0, v6
	v_or3_b32 v7, v15, v14, v7
	v_cndmask_b32_e64 v14, 0, 1, s[2:3]
	v_add_co_u32_e64 v14, s[2:3], v6, v14
	v_addc_co_u32_e64 v15, s[2:3], 0, v7, s[2:3]
	v_add_f64 v[8:9], v[8:9], v[14:15]
	v_cvt_f64_i32_e32 v[14:15], v3
	v_cmp_lt_i64_e64 s[2:3], -1, v[2:3]
	s_and_b64 s[4:5], s[2:3], s[4:5]
	v_ldexp_f64 v[14:15], v[14:15], 32
	v_cndmask_b32_e64 v4, 0, 1, s[4:5]
	v_add_f64 v[14:15], v[14:15], v[12:13]
	v_add_f64 v[8:9], v[8:9], v[14:15]
	v_and_b32_e32 v15, 0xff, v11
	v_mov_b32_e32 v14, v10
	v_and_b32_e32 v10, v10, v16
	v_and_b32_e32 v11, v15, v16
	v_cmp_ne_u64_e64 s[6:7], 0, v[10:11]
	v_add_co_u32_e64 v10, s[4:5], v6, v4
	v_addc_co_u32_e64 v11, s[4:5], 0, v7, s[4:5]
	v_add_f64 v[8:9], v[8:9], v[10:11]
	v_add_f64 v[10:11], v[2:3], 0
	v_cmp_gt_i32_e64 s[4:5], 0, v2
	v_add_f64 v[6:7], v[8:9], v[6:7]
	v_cvt_f32_f64_e32 v4, v[10:11]
	v_min_i32_e32 v10, 0x7fffffbf, v2
	v_cvt_f32_i32_e32 v10, v10
	v_mov_b32_e32 v9, 0x43e00000
	v_sub_u32_e32 v11, 0x80000000, v10
	v_cndmask_b32_e64 v11, v10, v11, s[4:5]
	v_add_u32_e32 v16, -1, v11
	v_sub_u32_e32 v21, 0x80000001, v11
	v_cmp_gt_i32_e64 s[4:5], 0, v16
	v_cndmask_b32_e64 v16, v16, v21, s[4:5]
	v_add_co_u32_e64 v22, s[4:5], 1, v11
	v_xor_b32_e32 v23, 0x7fffffff, v11
	v_cmp_gt_i32_e64 s[8:9], -1, v11
	v_bfrev_b32_e32 v21, 1
	v_cndmask_b32_e64 v11, v22, v23, s[8:9]
	v_cndmask_b32_e64 v11, v11, v21, s[4:5]
	v_cvt_i32_f32_e32 v21, v10
	v_cmp_gt_i32_e64 s[4:5], v2, v21
	v_cmp_lt_i32_e64 s[8:9], v2, v21
	v_cndmask_b32_e64 v16, v10, v16, s[8:9]
	v_cndmask_b32_e64 v10, v10, v11, s[4:5]
	v_cvt_f32_i32_e32 v11, v2
	v_add_f32_e32 v4, v16, v4
	s_mov_b32 s8, 0x7fffff
	v_add_f32_e32 v4, v4, v11
	v_add_f32_e32 v4, v10, v4
	v_ffbh_u32_e32 v10, v2
	v_min_u32_e32 v11, 32, v10
	v_lshlrev_b32_e32 v16, v11, v2
	v_lshlrev_b32_e32 v11, 23, v11
	v_sub_u32_e32 v11, 0x4f000000, v11
	v_cndmask_b32_e64 v11, v11, 0, s[0:1]
	v_lshrrev_b32_e32 v16, 8, v16
	v_and_or_b32 v11, v16, s8, v11
	v_cvt_f32_u32_e32 v16, v2
	v_add_f32_e32 v4, v4, v19
	v_add_f32_e32 v4, v4, v11
	v_add_u32_e64 v10, v10, 32 clamp
	v_add_f32_e32 v4, v4, v16
	v_min_u32_e32 v16, 0xffffff7f, v2
	v_cvt_f32_u32_e32 v16, v16
	v_cvt_u32_f32_e32 v19, v16
	v_add_u32_e32 v21, 1, v16
	v_cmp_gt_u32_e64 s[0:1], v2, v19
	v_cndmask_b32_e64 v16, v16, v21, s[0:1]
	v_add_f32_e32 v4, v16, v4
	v_add_f32_e32 v4, v4, v11
	v_cvt_f32_i32_e32 v11, v18
	v_add_f32_e32 v4, v4, v2
	v_add_f32_e32 v4, v4, v2
	v_addc_co_u32_e64 v16, s[0:1], 0, v20, s[6:7]
	v_add_f32_e32 v4, v4, v16
	v_sub_u32_e32 v16, 32, v17
	v_ldexp_f32 v11, v11, v16
	v_ffbh_u32_e32 v16, v3
	v_min3_u32 v17, v10, v16, 64
	v_add_f32_e32 v4, v4, v11
	v_lshlrev_b64 v[10:11], v17, v[2:3]
	v_cmp_ne_u64_e64 s[0:1], 0, v[14:15]
	v_lshlrev_b32_e32 v8, 20, v17
	v_sub_co_u32_e64 v14, s[4:5], 0, 0
	v_subb_co_u32_e64 v15, s[4:5], v9, v8, s[4:5]
	v_lshrrev_b64 v[8:9], 11, v[10:11]
	v_cndmask_b32_e64 v14, v14, 0, vcc
	v_and_b32_e32 v9, 0xfffff, v9
	v_or_b32_e32 v8, v8, v14
	v_cndmask_b32_e64 v14, v15, 0, vcc
	v_or_b32_e32 v9, v9, v14
	v_cvt_f64_u32_e32 v[14:15], v3
	v_add_f64 v[6:7], v[6:7], v[8:9]
	s_and_b64 s[0:1], s[2:3], s[0:1]
	v_ldexp_f64 v[14:15], v[14:15], 32
	v_add_f64 v[12:13], v[14:15], v[12:13]
	v_addc_co_u32_e64 v14, s[0:1], 0, v20, s[0:1]
	v_add_f32_e32 v4, v4, v14
	v_add_f32_e32 v14, v4, v20
	v_lshlrev_b32_e32 v4, 23, v17
	v_sub_u32_e32 v15, 0x5f000000, v4
	v_and_b32_e32 v4, 0x7ff, v10
	v_add_f64 v[6:7], v[6:7], v[12:13]
	v_cmp_ne_u64_e64 s[0:1], 0, v[4:5]
	v_min_u32_e32 v13, 32, v16
	v_cndmask_b32_e64 v4, 0, 1, s[0:1]
	v_add_co_u32_e64 v4, s[0:1], v8, v4
	v_addc_co_u32_e64 v5, s[0:1], 0, v9, s[0:1]
	v_add_f64 v[4:5], v[6:7], v[4:5]
	v_lshlrev_b64 v[6:7], v13, v[2:3]
	v_cndmask_b32_e64 v12, v15, 0, vcc
	v_min_u32_e32 v6, 1, v6
	v_or_b32_e32 v6, v7, v6
	v_cvt_f32_u32_e32 v6, v6
	v_lshrrev_b32_e32 v15, 8, v11
	v_and_b32_e32 v11, 0xff, v11
	v_add_f64 v[4:5], v[4:5], v[8:9]
	v_and_or_b32 v7, v15, s8, v12
	v_sub_u32_e32 v9, 32, v13
	v_cmp_ne_u64_e32 vcc, 0, v[10:11]
	v_add_f32_e32 v8, v14, v7
	v_ldexp_f32 v6, v6, v9
	v_add_f32_e32 v6, v8, v6
	v_add_f64 v[2:3], v[4:5], v[2:3]
	v_addc_co_u32_e32 v4, vcc, 0, v7, vcc
	v_add_f32_e32 v4, v6, v4
	v_add_f32_e32 v4, v4, v7
	v_cvt_f64_f32_e32 v[4:5], v4
	v_add_co_u32_e32 v0, vcc, s10, v0
	v_add_f64 v[2:3], v[2:3], v[4:5]
	v_mov_b32_e32 v4, s11
	v_addc_co_u32_e32 v1, vcc, v4, v1, vcc
	global_store_dwordx2 v[0:1], v[2:3], off
.LBB1_2:
	s_endpgm
	.section	.rodata,"a",@progbits
	.p2align	6, 0x0
	.amdhsa_kernel _Z16cast2_intrinsicsiPKxPx
		.amdhsa_group_segment_fixed_size 0
		.amdhsa_private_segment_fixed_size 0
		.amdhsa_kernarg_size 280
		.amdhsa_user_sgpr_count 6
		.amdhsa_user_sgpr_private_segment_buffer 1
		.amdhsa_user_sgpr_dispatch_ptr 0
		.amdhsa_user_sgpr_queue_ptr 0
		.amdhsa_user_sgpr_kernarg_segment_ptr 1
		.amdhsa_user_sgpr_dispatch_id 0
		.amdhsa_user_sgpr_flat_scratch_init 0
		.amdhsa_user_sgpr_private_segment_size 0
		.amdhsa_uses_dynamic_stack 0
		.amdhsa_system_sgpr_private_segment_wavefront_offset 0
		.amdhsa_system_sgpr_workgroup_id_x 1
		.amdhsa_system_sgpr_workgroup_id_y 0
		.amdhsa_system_sgpr_workgroup_id_z 0
		.amdhsa_system_sgpr_workgroup_info 0
		.amdhsa_system_vgpr_workitem_id 0
		.amdhsa_next_free_vgpr 24
		.amdhsa_next_free_sgpr 12
		.amdhsa_reserve_vcc 1
		.amdhsa_reserve_flat_scratch 0
		.amdhsa_float_round_mode_32 0
		.amdhsa_float_round_mode_16_64 0
		.amdhsa_float_denorm_mode_32 3
		.amdhsa_float_denorm_mode_16_64 3
		.amdhsa_dx10_clamp 1
		.amdhsa_ieee_mode 1
		.amdhsa_fp16_overflow 0
		.amdhsa_exception_fp_ieee_invalid_op 0
		.amdhsa_exception_fp_denorm_src 0
		.amdhsa_exception_fp_ieee_div_zero 0
		.amdhsa_exception_fp_ieee_overflow 0
		.amdhsa_exception_fp_ieee_underflow 0
		.amdhsa_exception_fp_ieee_inexact 0
		.amdhsa_exception_int_div_zero 0
	.end_amdhsa_kernel
	.text
.Lfunc_end1:
	.size	_Z16cast2_intrinsicsiPKxPx, .Lfunc_end1-_Z16cast2_intrinsicsiPKxPx
                                        ; -- End function
	.set _Z16cast2_intrinsicsiPKxPx.num_vgpr, 24
	.set _Z16cast2_intrinsicsiPKxPx.num_agpr, 0
	.set _Z16cast2_intrinsicsiPKxPx.numbered_sgpr, 12
	.set _Z16cast2_intrinsicsiPKxPx.num_named_barrier, 0
	.set _Z16cast2_intrinsicsiPKxPx.private_seg_size, 0
	.set _Z16cast2_intrinsicsiPKxPx.uses_vcc, 1
	.set _Z16cast2_intrinsicsiPKxPx.uses_flat_scratch, 0
	.set _Z16cast2_intrinsicsiPKxPx.has_dyn_sized_stack, 0
	.set _Z16cast2_intrinsicsiPKxPx.has_recursion, 0
	.set _Z16cast2_intrinsicsiPKxPx.has_indirect_call, 0
	.section	.AMDGPU.csdata,"",@progbits
; Kernel info:
; codeLenInByte = 1240
; TotalNumSgprs: 16
; NumVgprs: 24
; ScratchSize: 0
; MemoryBound: 0
; FloatMode: 240
; IeeeMode: 1
; LDSByteSize: 0 bytes/workgroup (compile time only)
; SGPRBlocks: 1
; VGPRBlocks: 5
; NumSGPRsForWavesPerEU: 16
; NumVGPRsForWavesPerEU: 24
; Occupancy: 10
; WaveLimiterHint : 0
; COMPUTE_PGM_RSRC2:SCRATCH_EN: 0
; COMPUTE_PGM_RSRC2:USER_SGPR: 6
; COMPUTE_PGM_RSRC2:TRAP_HANDLER: 0
; COMPUTE_PGM_RSRC2:TGID_X_EN: 1
; COMPUTE_PGM_RSRC2:TGID_Y_EN: 0
; COMPUTE_PGM_RSRC2:TGID_Z_EN: 0
; COMPUTE_PGM_RSRC2:TIDIG_COMP_CNT: 0
	.section	.AMDGPU.gpr_maximums,"",@progbits
	.set amdgpu.max_num_vgpr, 0
	.set amdgpu.max_num_agpr, 0
	.set amdgpu.max_num_sgpr, 0
	.section	.AMDGPU.csdata,"",@progbits
	.type	__hip_cuid_e8b00f55429dbcd1,@object ; @__hip_cuid_e8b00f55429dbcd1
	.section	.bss,"aw",@nobits
	.globl	__hip_cuid_e8b00f55429dbcd1
__hip_cuid_e8b00f55429dbcd1:
	.byte	0                               ; 0x0
	.size	__hip_cuid_e8b00f55429dbcd1, 1

	.ident	"AMD clang version 22.0.0git (https://github.com/RadeonOpenCompute/llvm-project roc-7.2.4 26084 f58b06dce1f9c15707c5f808fd002e18c2accf7e)"
	.section	".note.GNU-stack","",@progbits
	.addrsig
	.addrsig_sym __hip_cuid_e8b00f55429dbcd1
	.amdgpu_metadata
---
amdhsa.kernels:
  - .args:
      - .offset:         0
        .size:           4
        .value_kind:     by_value
      - .address_space:  global
        .offset:         8
        .size:           8
        .value_kind:     global_buffer
      - .address_space:  global
        .offset:         16
        .size:           8
        .value_kind:     global_buffer
      - .offset:         24
        .size:           4
        .value_kind:     hidden_block_count_x
      - .offset:         28
        .size:           4
        .value_kind:     hidden_block_count_y
      - .offset:         32
        .size:           4
        .value_kind:     hidden_block_count_z
      - .offset:         36
        .size:           2
        .value_kind:     hidden_group_size_x
      - .offset:         38
        .size:           2
        .value_kind:     hidden_group_size_y
      - .offset:         40
        .size:           2
        .value_kind:     hidden_group_size_z
      - .offset:         42
        .size:           2
        .value_kind:     hidden_remainder_x
      - .offset:         44
        .size:           2
        .value_kind:     hidden_remainder_y
      - .offset:         46
        .size:           2
        .value_kind:     hidden_remainder_z
      - .offset:         64
        .size:           8
        .value_kind:     hidden_global_offset_x
      - .offset:         72
        .size:           8
        .value_kind:     hidden_global_offset_y
      - .offset:         80
        .size:           8
        .value_kind:     hidden_global_offset_z
      - .offset:         88
        .size:           2
        .value_kind:     hidden_grid_dims
    .group_segment_fixed_size: 0
    .kernarg_segment_align: 8
    .kernarg_segment_size: 280
    .language:       OpenCL C
    .language_version:
      - 2
      - 0
    .max_flat_workgroup_size: 1024
    .name:           _Z16cast1_intrinsicsiPKdPx
    .private_segment_fixed_size: 0
    .sgpr_count:     11
    .sgpr_spill_count: 0
    .symbol:         _Z16cast1_intrinsicsiPKdPx.kd
    .uniform_work_group_size: 1
    .uses_dynamic_stack: false
    .vgpr_count:     38
    .vgpr_spill_count: 0
    .wavefront_size: 64
  - .args:
      - .offset:         0
        .size:           4
        .value_kind:     by_value
      - .address_space:  global
        .offset:         8
        .size:           8
        .value_kind:     global_buffer
      - .address_space:  global
        .offset:         16
        .size:           8
        .value_kind:     global_buffer
      - .offset:         24
        .size:           4
        .value_kind:     hidden_block_count_x
      - .offset:         28
        .size:           4
        .value_kind:     hidden_block_count_y
      - .offset:         32
        .size:           4
        .value_kind:     hidden_block_count_z
      - .offset:         36
        .size:           2
        .value_kind:     hidden_group_size_x
      - .offset:         38
        .size:           2
        .value_kind:     hidden_group_size_y
      - .offset:         40
        .size:           2
        .value_kind:     hidden_group_size_z
      - .offset:         42
        .size:           2
        .value_kind:     hidden_remainder_x
      - .offset:         44
        .size:           2
        .value_kind:     hidden_remainder_y
      - .offset:         46
        .size:           2
        .value_kind:     hidden_remainder_z
      - .offset:         64
        .size:           8
        .value_kind:     hidden_global_offset_x
      - .offset:         72
        .size:           8
        .value_kind:     hidden_global_offset_y
      - .offset:         80
        .size:           8
        .value_kind:     hidden_global_offset_z
      - .offset:         88
        .size:           2
        .value_kind:     hidden_grid_dims
    .group_segment_fixed_size: 0
    .kernarg_segment_align: 8
    .kernarg_segment_size: 280
    .language:       OpenCL C
    .language_version:
      - 2
      - 0
    .max_flat_workgroup_size: 1024
    .name:           _Z16cast2_intrinsicsiPKxPx
    .private_segment_fixed_size: 0
    .sgpr_count:     16
    .sgpr_spill_count: 0
    .symbol:         _Z16cast2_intrinsicsiPKxPx.kd
    .uniform_work_group_size: 1
    .uses_dynamic_stack: false
    .vgpr_count:     24
    .vgpr_spill_count: 0
    .wavefront_size: 64
amdhsa.target:   amdgcn-amd-amdhsa--gfx906
amdhsa.version:
  - 1
  - 2
...

	.end_amdgpu_metadata
